;; amdgpu-corpus repo=ROCm/rocFFT kind=compiled arch=gfx906 opt=O3
	.text
	.amdgcn_target "amdgcn-amd-amdhsa--gfx906"
	.amdhsa_code_object_version 6
	.protected	fft_rtc_fwd_len192_factors_6_4_4_2_wgs_256_tpt_32_half_op_CI_CI_sbrc_aligned_dirReg ; -- Begin function fft_rtc_fwd_len192_factors_6_4_4_2_wgs_256_tpt_32_half_op_CI_CI_sbrc_aligned_dirReg
	.globl	fft_rtc_fwd_len192_factors_6_4_4_2_wgs_256_tpt_32_half_op_CI_CI_sbrc_aligned_dirReg
	.p2align	8
	.type	fft_rtc_fwd_len192_factors_6_4_4_2_wgs_256_tpt_32_half_op_CI_CI_sbrc_aligned_dirReg,@function
fft_rtc_fwd_len192_factors_6_4_4_2_wgs_256_tpt_32_half_op_CI_CI_sbrc_aligned_dirReg: ; @fft_rtc_fwd_len192_factors_6_4_4_2_wgs_256_tpt_32_half_op_CI_CI_sbrc_aligned_dirReg
; %bb.0:
	s_load_dwordx8 s[8:15], s[4:5], 0x0
	s_mov_b32 s34, 0
	s_mov_b32 s30, 3
	s_mov_b64 s[36:37], 2
	s_waitcnt lgkmcnt(0)
	s_load_dword s0, s[12:13], 0x8
	s_load_dwordx4 s[20:23], s[4:5], 0x58
	s_load_dwordx2 s[28:29], s[4:5], 0x20
	s_load_dwordx4 s[24:27], s[14:15], 0x0
	s_mov_b32 s5, s34
	s_waitcnt lgkmcnt(0)
	s_add_i32 s0, s0, -1
	s_lshr_b32 s0, s0, 3
	s_add_i32 s33, s0, 1
	v_cvt_f32_u32_e32 v1, s33
	s_sub_i32 s2, 0, s33
	s_load_dwordx4 s[16:19], s[28:29], 0x0
	v_cmp_gt_u64_e64 s[0:1], s[10:11], 2
	v_rcp_iflag_f32_e32 v1, v1
	v_mul_f32_e32 v1, 0x4f7ffffe, v1
	v_cvt_u32_f32_e32 v1, v1
	v_readfirstlane_b32 s3, v1
	s_mul_i32 s2, s2, s3
	s_mul_hi_u32 s2, s3, s2
	s_add_i32 s3, s3, s2
	s_mul_hi_u32 s2, s6, s3
	s_mul_i32 s3, s2, s33
	s_sub_i32 s3, s6, s3
	s_add_i32 s4, s2, 1
	s_sub_i32 s7, s3, s33
	s_cmp_ge_u32 s3, s33
	s_cselect_b32 s2, s4, s2
	s_cselect_b32 s3, s7, s3
	s_add_i32 s4, s2, 1
	s_cmp_ge_u32 s3, s33
	s_cselect_b32 s7, s4, s2
	s_mul_i32 s2, s7, s33
	s_sub_i32 s2, s6, s2
	s_lshl_b32 s2, s2, 3
	s_waitcnt lgkmcnt(0)
	s_mul_i32 s3, s17, s2
	s_mul_hi_u32 s19, s16, s2
	s_mul_i32 s4, s2, s26
	s_mul_i32 s2, s16, s2
	s_add_i32 s3, s19, s3
	s_and_b64 vcc, exec, s[0:1]
	s_cbranch_vccz .LBB0_9
; %bb.1:
	v_mov_b32_e32 v1, s10
	v_mov_b32_e32 v2, s11
.LBB0_2:                                ; =>This Inner Loop Header: Depth=1
	s_lshl_b64 s[36:37], s[36:37], 3
	s_add_u32 s0, s12, s36
	s_addc_u32 s1, s13, s37
	s_load_dwordx2 s[38:39], s[0:1], 0x0
	s_waitcnt lgkmcnt(0)
	s_mov_b32 s35, s39
	s_cmp_lg_u64 s[34:35], 0
	s_cbranch_scc0 .LBB0_7
; %bb.3:                                ;   in Loop: Header=BB0_2 Depth=1
	v_cvt_f32_u32_e32 v3, s38
	v_cvt_f32_u32_e32 v4, s39
	s_sub_u32 s0, 0, s38
	s_subb_u32 s1, 0, s39
	v_mac_f32_e32 v3, 0x4f800000, v4
	v_rcp_f32_e32 v3, v3
	v_mul_f32_e32 v3, 0x5f7ffffc, v3
	v_mul_f32_e32 v4, 0x2f800000, v3
	v_trunc_f32_e32 v4, v4
	v_mac_f32_e32 v3, 0xcf800000, v4
	v_cvt_u32_f32_e32 v4, v4
	v_cvt_u32_f32_e32 v3, v3
	v_readfirstlane_b32 s19, v4
	v_readfirstlane_b32 s27, v3
	s_mul_i32 s31, s0, s19
	s_mul_hi_u32 s40, s0, s27
	s_mul_i32 s35, s1, s27
	s_add_i32 s31, s40, s31
	s_mul_i32 s41, s0, s27
	s_add_i32 s31, s31, s35
	s_mul_hi_u32 s35, s27, s31
	s_mul_i32 s40, s27, s31
	s_mul_hi_u32 s27, s27, s41
	s_add_u32 s27, s27, s40
	s_addc_u32 s35, 0, s35
	s_mul_hi_u32 s42, s19, s41
	s_mul_i32 s41, s19, s41
	s_add_u32 s27, s27, s41
	s_mul_hi_u32 s40, s19, s31
	s_addc_u32 s27, s35, s42
	s_addc_u32 s35, s40, 0
	s_mul_i32 s31, s19, s31
	s_add_u32 s27, s27, s31
	s_addc_u32 s31, 0, s35
	v_add_co_u32_e32 v3, vcc, s27, v3
	s_cmp_lg_u64 vcc, 0
	s_addc_u32 s19, s19, s31
	v_readfirstlane_b32 s31, v3
	s_mul_i32 s27, s0, s19
	s_mul_hi_u32 s35, s0, s31
	s_add_i32 s27, s35, s27
	s_mul_i32 s1, s1, s31
	s_add_i32 s27, s27, s1
	s_mul_i32 s0, s0, s31
	s_mul_hi_u32 s35, s19, s0
	s_mul_i32 s40, s19, s0
	s_mul_i32 s42, s31, s27
	s_mul_hi_u32 s0, s31, s0
	s_mul_hi_u32 s41, s31, s27
	s_add_u32 s0, s0, s42
	s_addc_u32 s31, 0, s41
	s_add_u32 s0, s0, s40
	s_mul_hi_u32 s1, s19, s27
	s_addc_u32 s0, s31, s35
	s_addc_u32 s1, s1, 0
	s_mul_i32 s27, s19, s27
	s_add_u32 s0, s0, s27
	s_addc_u32 s1, 0, s1
	v_add_co_u32_e32 v3, vcc, s0, v3
	s_cmp_lg_u64 vcc, 0
	s_addc_u32 s0, s19, s1
	v_readfirstlane_b32 s19, v3
	s_mul_hi_u32 s1, s7, s0
	s_mul_i32 s0, s7, s0
	s_mul_hi_u32 s19, s7, s19
	s_add_u32 s0, s19, s0
	s_addc_u32 s19, 0, s1
	s_mul_i32 s0, s39, s19
	s_mul_hi_u32 s1, s38, s19
	s_add_i32 s27, s1, s0
	s_mul_i32 s1, s38, s19
	v_mov_b32_e32 v3, s1
	s_sub_i32 s0, 0, s27
	v_sub_co_u32_e32 v3, vcc, s7, v3
	s_cmp_lg_u64 vcc, 0
	s_subb_u32 s31, s0, s39
	v_subrev_co_u32_e64 v4, s[0:1], s38, v3
	s_cmp_lg_u64 s[0:1], 0
	s_subb_u32 s0, s31, 0
	s_cmp_ge_u32 s0, s39
	v_readfirstlane_b32 s31, v4
	s_cselect_b32 s1, -1, 0
	s_cmp_ge_u32 s31, s38
	s_cselect_b32 s31, -1, 0
	s_cmp_eq_u32 s0, s39
	s_cselect_b32 s0, s31, s1
	s_add_u32 s1, s19, 1
	s_addc_u32 s31, 0, 0
	s_add_u32 s35, s19, 2
	s_addc_u32 s40, 0, 0
	s_cmp_lg_u32 s0, 0
	s_cselect_b32 s0, s35, s1
	s_cselect_b32 s1, s40, s31
	s_cmp_lg_u64 vcc, 0
	s_subb_u32 s27, 0, s27
	s_cmp_ge_u32 s27, s39
	v_readfirstlane_b32 s35, v3
	s_cselect_b32 s31, -1, 0
	s_cmp_ge_u32 s35, s38
	s_cselect_b32 s35, -1, 0
	s_cmp_eq_u32 s27, s39
	s_cselect_b32 s27, s35, s31
	s_cmp_lg_u32 s27, 0
	s_cselect_b32 s1, s1, 0
	s_cselect_b32 s0, s0, s19
	s_cbranch_execnz .LBB0_5
.LBB0_4:                                ;   in Loop: Header=BB0_2 Depth=1
	v_cvt_f32_u32_e32 v3, s38
	s_sub_i32 s0, 0, s38
	v_rcp_iflag_f32_e32 v3, v3
	v_mul_f32_e32 v3, 0x4f7ffffe, v3
	v_cvt_u32_f32_e32 v3, v3
	v_readfirstlane_b32 s1, v3
	s_mul_i32 s0, s0, s1
	s_mul_hi_u32 s0, s1, s0
	s_add_i32 s1, s1, s0
	s_mul_hi_u32 s0, s7, s1
	s_mul_i32 s19, s0, s38
	s_sub_i32 s19, s7, s19
	s_add_i32 s1, s0, 1
	s_sub_i32 s27, s19, s38
	s_cmp_ge_u32 s19, s38
	s_cselect_b32 s0, s1, s0
	s_cselect_b32 s19, s27, s19
	s_add_i32 s1, s0, 1
	s_cmp_ge_u32 s19, s38
	s_cselect_b32 s0, s1, s0
	s_mov_b32 s1, s34
.LBB0_5:                                ;   in Loop: Header=BB0_2 Depth=1
	s_mul_i32 s19, s0, s39
	s_mul_hi_u32 s27, s0, s38
	s_add_i32 s19, s27, s19
	s_mul_i32 s1, s1, s38
	s_add_i32 s19, s19, s1
	s_mul_i32 s1, s0, s38
	s_sub_u32 s1, s7, s1
	s_subb_u32 s7, 0, s19
	s_add_u32 s40, s14, s36
	s_addc_u32 s41, s15, s37
	s_load_dwordx2 s[40:41], s[40:41], 0x0
	s_mov_b32 s31, s34
	v_cmp_ge_u64_e32 vcc, s[30:31], v[1:2]
	s_mul_i32 s33, s33, s38
	s_waitcnt lgkmcnt(0)
	s_mul_i32 s19, s40, s7
	s_mul_hi_u32 s27, s40, s1
	s_add_i32 s19, s27, s19
	s_mul_i32 s27, s41, s1
	s_add_i32 s19, s19, s27
	s_mul_i32 s27, s40, s1
	s_add_u32 s4, s27, s4
	s_addc_u32 s5, s19, s5
	s_add_u32 s36, s28, s36
	s_addc_u32 s37, s29, s37
	s_load_dwordx2 s[36:37], s[36:37], 0x0
	s_waitcnt lgkmcnt(0)
	s_mul_i32 s7, s36, s7
	s_mul_hi_u32 s19, s36, s1
	s_add_i32 s7, s19, s7
	s_mul_i32 s19, s37, s1
	s_add_i32 s7, s7, s19
	s_mul_i32 s1, s36, s1
	s_add_u32 s2, s1, s2
	s_addc_u32 s3, s7, s3
	s_mov_b64 s[36:37], s[30:31]
	s_add_i32 s30, s30, 1
	s_cbranch_vccnz .LBB0_8
; %bb.6:                                ;   in Loop: Header=BB0_2 Depth=1
	s_mov_b32 s7, s0
	s_branch .LBB0_2
.LBB0_7:                                ;   in Loop: Header=BB0_2 Depth=1
                                        ; implicit-def: $sgpr0_sgpr1
	s_branch .LBB0_4
.LBB0_8:
	v_cvt_f32_u32_e32 v1, s33
	s_sub_i32 s0, 0, s33
	v_rcp_iflag_f32_e32 v1, v1
	v_mul_f32_e32 v1, 0x4f7ffffe, v1
	v_cvt_u32_f32_e32 v1, v1
	v_readfirstlane_b32 s1, v1
	s_mul_i32 s0, s0, s1
	s_mul_hi_u32 s0, s1, s0
	s_add_i32 s1, s1, s0
	s_mul_hi_u32 s0, s6, s1
	s_mul_i32 s1, s0, s33
	s_sub_i32 s1, s6, s1
	s_add_i32 s7, s0, 1
	s_sub_i32 s6, s1, s33
	s_cmp_ge_u32 s1, s33
	s_cselect_b32 s0, s7, s0
	s_cselect_b32 s1, s6, s1
	s_add_i32 s6, s0, 1
	s_cmp_ge_u32 s1, s33
	s_cselect_b32 s7, s6, s0
.LBB0_9:
	s_lshl_b64 s[0:1], s[10:11], 3
	s_add_u32 s10, s14, s0
	s_addc_u32 s11, s15, s1
	s_load_dwordx2 s[10:11], s[10:11], 0x0
	v_mul_u32_u24_e32 v1, 0x156, v0
	v_lshrrev_b32_e32 v15, 16, v1
	v_mul_lo_u16_e32 v1, 0xc0, v15
	v_sub_u16_e32 v16, v0, v1
	s_waitcnt lgkmcnt(0)
	s_mul_i32 s6, s11, s7
	v_mad_u64_u32 v[1:2], s[12:13], s24, v16, 0
	s_mul_hi_u32 s11, s10, s7
	s_add_i32 s11, s11, s6
	s_mul_i32 s10, s10, s7
	s_add_u32 s0, s28, s0
	s_movk_i32 s6, 0x156
	v_or_b32_e32 v5, 0x100, v0
	s_addc_u32 s1, s29, s1
	s_lshl_b64 s[10:11], s[10:11], 2
	v_mul_u32_u24_sdwa v6, v5, s6 dst_sel:DWORD dst_unused:UNUSED_PAD src0_sel:WORD_0 src1_sel:DWORD
	v_mad_u64_u32 v[2:3], s[12:13], s25, v16, v[2:3]
	s_add_u32 s10, s20, s10
	v_lshrrev_b32_e32 v17, 16, v6
	s_addc_u32 s11, s21, s11
	s_lshl_b64 s[4:5], s[4:5], 2
	v_mul_lo_u16_e32 v6, 0xc0, v17
	s_add_u32 s10, s10, s4
	v_sub_u16_e32 v18, v5, v6
	v_mul_lo_u32 v3, s26, v15
	s_addc_u32 s11, s11, s5
	v_mad_u64_u32 v[5:6], s[4:5], s24, v18, 0
	v_lshlrev_b64 v[1:2], 2, v[1:2]
	v_mov_b32_e32 v4, 0
	v_mov_b32_e32 v7, s11
	v_add_co_u32_e32 v8, vcc, s10, v1
	v_addc_co_u32_e32 v9, vcc, v7, v2, vcc
	v_lshlrev_b64 v[1:2], 2, v[3:4]
	v_mov_b32_e32 v3, v6
	v_mad_u64_u32 v[6:7], s[4:5], s25, v18, v[3:4]
	v_or_b32_e32 v7, 0x200, v0
	s_movk_i32 s6, 0x2ab
	v_add_co_u32_e32 v1, vcc, v8, v1
	v_mul_u32_u24_sdwa v8, v7, s6 dst_sel:DWORD dst_unused:UNUSED_PAD src0_sel:WORD_0 src1_sel:DWORD
	v_lshrrev_b32_e32 v19, 17, v8
	v_mul_lo_u16_e32 v8, 0xc0, v19
	v_sub_u16_e32 v20, v7, v8
	v_mul_lo_u32 v3, s26, v17
	v_mad_u64_u32 v[7:8], s[4:5], s24, v20, 0
	v_lshlrev_b64 v[5:6], 2, v[5:6]
	v_addc_co_u32_e32 v2, vcc, v9, v2, vcc
	v_mov_b32_e32 v9, s11
	v_add_co_u32_e32 v10, vcc, s10, v5
	v_addc_co_u32_e32 v11, vcc, v9, v6, vcc
	v_lshlrev_b64 v[5:6], 2, v[3:4]
	v_mov_b32_e32 v3, v8
	v_mad_u64_u32 v[8:9], s[4:5], s25, v20, v[3:4]
	v_or_b32_e32 v9, 0x300, v0
	v_add_co_u32_e32 v5, vcc, v10, v5
	v_mul_u32_u24_sdwa v10, v9, s6 dst_sel:DWORD dst_unused:UNUSED_PAD src0_sel:WORD_0 src1_sel:DWORD
	v_lshrrev_b32_e32 v21, 17, v10
	v_mul_lo_u16_e32 v10, 0xc0, v21
	v_sub_u16_e32 v22, v9, v10
	v_mul_lo_u32 v3, s26, v19
	v_mad_u64_u32 v[9:10], s[4:5], s24, v22, 0
	v_lshlrev_b64 v[7:8], 2, v[7:8]
	v_addc_co_u32_e32 v6, vcc, v11, v6, vcc
	v_mov_b32_e32 v11, s11
	v_add_co_u32_e32 v12, vcc, s10, v7
	v_addc_co_u32_e32 v13, vcc, v11, v8, vcc
	v_lshlrev_b64 v[7:8], 2, v[3:4]
	v_mov_b32_e32 v3, v10
	v_mad_u64_u32 v[10:11], s[4:5], s25, v22, v[3:4]
	v_or_b32_e32 v11, 0x400, v0
	;; [unrolled: 16-line block ×3, first 2 shown]
	v_add_co_u32_e32 v9, vcc, v14, v9
	v_mul_u32_u24_sdwa v14, v13, s6 dst_sel:DWORD dst_unused:UNUSED_PAD src0_sel:WORD_0 src1_sel:DWORD
	v_lshrrev_b32_e32 v26, 17, v14
	global_load_dword v29, v[1:2], off
	global_load_dword v30, v[5:6], off
	v_mul_lo_u16_e32 v14, 0xc0, v26
	global_load_dword v8, v[7:8], off
	v_sub_u16_e32 v27, v13, v14
	v_mad_u64_u32 v[13:14], s[4:5], s24, v27, 0
	v_addc_co_u32_e32 v10, vcc, v25, v10, vcc
	global_load_dword v9, v[9:10], off
	v_mul_lo_u32 v3, s26, v23
	v_mov_b32_e32 v1, v14
	v_lshlrev_b64 v[11:12], 2, v[11:12]
	v_mad_u64_u32 v[1:2], s[4:5], s25, v27, v[1:2]
	v_mov_b32_e32 v25, s11
	v_add_co_u32_e32 v28, vcc, s10, v11
	v_addc_co_u32_e32 v25, vcc, v25, v12, vcc
	v_lshlrev_b64 v[11:12], 2, v[3:4]
	v_mov_b32_e32 v14, v1
	v_mul_lo_u32 v3, s26, v26
	v_add_co_u32_e32 v5, vcc, v28, v11
	v_lshlrev_b64 v[1:2], 2, v[13:14]
	v_addc_co_u32_e32 v6, vcc, v25, v12, vcc
	v_mov_b32_e32 v7, s11
	v_add_co_u32_e32 v10, vcc, s10, v1
	v_addc_co_u32_e32 v7, vcc, v7, v2, vcc
	v_lshlrev_b64 v[1:2], 2, v[3:4]
	global_load_dword v3, v[5:6], off
	v_add_co_u32_e32 v1, vcc, v10, v1
	v_addc_co_u32_e32 v2, vcc, v7, v2, vcc
	global_load_dword v1, v[1:2], off
	v_lshlrev_b16_e32 v2, 3, v16
	v_or_b32_e32 v2, v2, v15
	v_and_b32_e32 v2, 0xffff, v2
	v_lshl_add_u32 v2, v2, 2, 0
	v_and_b32_e32 v7, 7, v0
	v_lshrrev_b32_e32 v10, 3, v0
	s_load_dwordx2 s[0:1], s[0:1], 0x0
	s_movk_i32 s5, 0xa0
	s_mov_b32 s4, 0xffff
	s_waitcnt vmcnt(5)
	ds_write_b32 v2, v29
	v_lshlrev_b16_e32 v2, 3, v18
	v_or_b32_e32 v2, v2, v17
	v_and_b32_e32 v2, 0xffff, v2
	v_lshl_add_u32 v2, v2, 2, 0
	s_waitcnt vmcnt(4)
	ds_write_b32 v2, v30
	v_lshlrev_b16_e32 v2, 3, v20
	v_or_b32_e32 v2, v2, v19
	v_and_b32_e32 v2, 0xffff, v2
	v_lshl_add_u32 v2, v2, 2, 0
	;; [unrolled: 6-line block ×4, first 2 shown]
	v_lshlrev_b32_e32 v8, 2, v7
	s_waitcnt vmcnt(1)
	ds_write_b32 v2, v3
	v_lshlrev_b16_e32 v2, 3, v27
	v_or_b32_e32 v2, v2, v26
	v_and_b32_e32 v2, 0xffff, v2
	v_lshl_add_u32 v2, v2, 2, 0
	s_waitcnt vmcnt(0)
	ds_write_b32 v2, v1
	v_lshlrev_b32_e32 v1, 5, v10
	v_add3_u32 v11, 0, v1, v8
	s_waitcnt lgkmcnt(0)
	s_barrier
	ds_read2st64_b32 v[1:2], v11 offset1:4
	ds_read2st64_b32 v[3:4], v11 offset0:8 offset1:12
	ds_read2st64_b32 v[5:6], v11 offset0:16 offset1:20
	v_mad_u32_u24 v9, v10, s5, v11
	s_movk_i32 s5, 0x3aee
	s_waitcnt lgkmcnt(0)
	v_pk_add_f16 v13, v2, v4
	v_pk_add_f16 v14, v13, v6
	;; [unrolled: 1-line block ×4, first 2 shown]
	v_pk_fma_f16 v1, v13, 0.5, v1 op_sel_hi:[1,0,1] neg_lo:[1,0,0] neg_hi:[1,0,0]
	v_pk_add_f16 v13, v4, v6
	v_pk_fma_f16 v2, v13, 0.5, v2 op_sel_hi:[1,0,1] neg_lo:[1,0,0] neg_hi:[1,0,0]
	v_pk_add_f16 v4, v4, v6 neg_lo:[0,1] neg_hi:[0,1]
	v_pk_fma_f16 v6, v4, s5, v2 op_sel:[0,0,1] op_sel_hi:[1,0,0]
	v_pk_fma_f16 v2, v4, s5, v2 op_sel:[0,0,1] op_sel_hi:[1,0,0] neg_lo:[1,0,0] neg_hi:[1,0,0]
	v_pk_add_f16 v3, v3, v5 neg_lo:[0,1] neg_hi:[0,1]
	v_lshrrev_b32_e32 v13, 16, v6
	v_bfi_b32 v4, s4, v6, v2
	v_mul_f16_e32 v6, 0x3aee, v2
	v_pk_mul_f16 v3, v3, s5 op_sel_hi:[1,0]
	v_fma_f16 v6, v13, 0.5, v6
	v_mul_f16_e32 v13, 0xbaee, v13
	v_pk_add_f16 v12, v12, v5
	v_pk_add_f16 v5, v1, v3 op_sel:[0,1] op_sel_hi:[1,0]
	v_pk_add_f16 v1, v1, v3 op_sel:[0,1] op_sel_hi:[1,0] neg_lo:[0,1] neg_hi:[0,1]
	v_fma_f16 v2, v2, 0.5, v13
	v_bfi_b32 v3, s4, v1, v5
	v_add_f16_e32 v17, v5, v6
	v_add_f16_sdwa v18, v1, v2 dst_sel:DWORD dst_unused:UNUSED_PAD src0_sel:WORD_1 src1_sel:DWORD
	s_mov_b32 s4, 0xbaee3aee
	v_pk_mul_f16 v13, v4, 0.5 op_sel_hi:[1,0]
	v_pk_add_f16 v16, v12, v14
	v_pk_fma_f16 v4, v4, s4, v13 op_sel:[0,0,1] op_sel_hi:[1,1,0] neg_lo:[0,0,1] neg_hi:[0,0,1]
	v_sub_f16_sdwa v15, v1, v2 dst_sel:DWORD dst_unused:UNUSED_PAD src0_sel:WORD_1 src1_sel:DWORD
	v_pack_b32_f16 v1, v17, v18
	s_barrier
	v_pk_add_f16 v19, v3, v4
	v_sub_f16_e32 v13, v5, v6
	ds_write2_b32 v9, v16, v1 offset1:8
	v_pk_add_f16 v1, v12, v14 neg_lo:[0,1] neg_hi:[0,1]
	ds_write2_b32 v9, v19, v1 offset0:16 offset1:24
	v_pack_b32_f16 v1, v13, v15
	v_pk_add_f16 v3, v3, v4 neg_lo:[0,1] neg_hi:[0,1]
	ds_write2_b32 v9, v1, v3 offset0:32 offset1:40
	s_waitcnt lgkmcnt(0)
	s_barrier
	ds_read2st64_b32 v[1:2], v11 offset1:6
	ds_read2st64_b32 v[5:6], v11 offset0:12 offset1:18
	v_or_b32_e32 v9, 32, v10
	s_movk_i32 s4, 0x80
	v_cmp_gt_u32_e32 vcc, s4, v0
	v_lshrrev_b32_e32 v16, 16, v3
	v_lshlrev_b32_e32 v12, 5, v9
                                        ; implicit-def: $vgpr18
                                        ; implicit-def: $vgpr17
                                        ; implicit-def: $vgpr19
	s_and_saveexec_b64 s[4:5], vcc
	s_cbranch_execz .LBB0_11
; %bb.10:
	v_add3_u32 v13, 0, v12, v8
	ds_read2st64_b32 v[3:4], v11 offset0:10 offset1:16
	ds_read_b32 v13, v13
	ds_read_b32 v17, v11 offset:5632
	s_waitcnt lgkmcnt(2)
	v_lshrrev_b32_e32 v16, 16, v3
	v_lshrrev_b32_e32 v19, 16, v4
	s_waitcnt lgkmcnt(1)
	v_lshrrev_b32_e32 v15, 16, v13
	s_waitcnt lgkmcnt(0)
	v_lshrrev_b32_e32 v18, 16, v17
.LBB0_11:
	s_or_b64 exec, exec, s[4:5]
	v_mul_lo_u16_e32 v20, 43, v10
	v_mov_b32_e32 v21, 6
	v_mul_lo_u16_sdwa v14, v20, v21 dst_sel:DWORD dst_unused:UNUSED_PAD src0_sel:BYTE_1 src1_sel:DWORD
	v_sub_u16_e32 v29, v10, v14
	v_mov_b32_e32 v14, 3
	v_mul_u32_u24_sdwa v14, v29, v14 dst_sel:DWORD dst_unused:UNUSED_PAD src0_sel:BYTE_0 src1_sel:DWORD
	v_lshlrev_b32_e32 v22, 2, v14
	v_mul_lo_u16_e32 v14, 43, v9
	v_mul_lo_u16_sdwa v21, v14, v21 dst_sel:DWORD dst_unused:UNUSED_PAD src0_sel:BYTE_1 src1_sel:DWORD
	v_sub_u16_e32 v21, v9, v21
	global_load_dwordx3 v[23:25], v22, s[8:9]
	v_mov_b32_e32 v22, 2
	v_mul_lo_u16_e32 v26, 3, v21
	v_lshlrev_b32_sdwa v22, v22, v26 dst_sel:DWORD dst_unused:UNUSED_PAD src0_sel:DWORD src1_sel:BYTE_0
	global_load_dwordx3 v[26:28], v22, s[8:9]
	v_mov_b32_e32 v22, 24
	v_mul_u32_u24_sdwa v20, v20, v22 dst_sel:DWORD dst_unused:UNUSED_PAD src0_sel:BYTE_1 src1_sel:DWORD
	v_or_b32_sdwa v20, v20, v29 dst_sel:DWORD dst_unused:UNUSED_PAD src0_sel:DWORD src1_sel:BYTE_0
	s_waitcnt lgkmcnt(0)
	v_lshrrev_b32_e32 v30, 16, v5
	v_lshrrev_b32_e32 v31, 16, v6
	;; [unrolled: 1-line block ×3, first 2 shown]
	v_lshlrev_b32_e32 v20, 5, v20
	v_add3_u32 v29, 0, v20, v8
	v_lshrrev_b32_e32 v33, 16, v1
	s_waitcnt vmcnt(0)
	s_barrier
	v_mul_f16_sdwa v20, v24, v30 dst_sel:DWORD dst_unused:UNUSED_PAD src0_sel:WORD_1 src1_sel:DWORD
	v_mul_f16_sdwa v34, v25, v31 dst_sel:DWORD dst_unused:UNUSED_PAD src0_sel:WORD_1 src1_sel:DWORD
	;; [unrolled: 1-line block ×6, first 2 shown]
	v_mul_f16_sdwa v39, v16, v26 dst_sel:DWORD dst_unused:UNUSED_PAD src0_sel:DWORD src1_sel:WORD_1
	v_fma_f16 v5, v24, v5, -v20
	v_fma_f16 v6, v25, v6, -v34
	v_mul_f16_sdwa v20, v19, v27 dst_sel:DWORD dst_unused:UNUSED_PAD src0_sel:DWORD src1_sel:WORD_1
	v_mul_f16_sdwa v34, v3, v26 dst_sel:DWORD dst_unused:UNUSED_PAD src0_sel:DWORD src1_sel:WORD_1
	v_fma_f16 v24, v24, v30, v35
	v_mul_f16_sdwa v30, v4, v27 dst_sel:DWORD dst_unused:UNUSED_PAD src0_sel:DWORD src1_sel:WORD_1
	v_fma_f16 v25, v25, v31, v36
	;; [unrolled: 2-line block ×3, first 2 shown]
	v_mul_f16_sdwa v35, v17, v28 dst_sel:DWORD dst_unused:UNUSED_PAD src0_sel:DWORD src1_sel:WORD_1
	v_fma_f16 v2, v23, v2, -v38
	v_fma_f16 v3, v3, v26, -v39
	;; [unrolled: 1-line block ×3, first 2 shown]
	v_fma_f16 v16, v16, v26, v34
	v_fma_f16 v19, v19, v27, v30
	v_fma_f16 v17, v17, v28, -v31
	v_fma_f16 v18, v18, v28, v35
	v_sub_f16_e32 v5, v1, v5
	v_sub_f16_e32 v20, v33, v24
	;; [unrolled: 1-line block ×8, first 2 shown]
	v_fma_f16 v25, v1, 2.0, -v5
	v_fma_f16 v26, v33, 2.0, -v20
	v_fma_f16 v1, v2, 2.0, -v6
	v_fma_f16 v2, v32, 2.0, -v23
	v_sub_f16_e32 v23, v5, v23
	v_add_f16_e32 v6, v20, v6
	v_fma_f16 v13, v13, 2.0, -v4
	v_fma_f16 v27, v15, 2.0, -v24
	;; [unrolled: 1-line block ×4, first 2 shown]
	v_sub_f16_e32 v15, v4, v18
	v_sub_f16_e32 v28, v25, v1
	;; [unrolled: 1-line block ×3, first 2 shown]
	v_add_f16_e32 v18, v24, v17
	v_fma_f16 v5, v5, 2.0, -v23
	v_fma_f16 v31, v20, 2.0, -v6
	v_sub_f16_e32 v2, v13, v3
	v_sub_f16_e32 v19, v27, v16
	v_fma_f16 v1, v4, 2.0, -v15
	v_pack_b32_f16 v3, v23, v6
	v_fma_f16 v4, v25, 2.0, -v28
	v_fma_f16 v6, v26, 2.0, -v30
	;; [unrolled: 1-line block ×5, first 2 shown]
	v_pack_b32_f16 v5, v5, v31
	v_pack_b32_f16 v4, v4, v6
	;; [unrolled: 1-line block ×3, first 2 shown]
	ds_write2_b32 v29, v4, v5 offset1:48
	ds_write2_b32 v29, v13, v3 offset0:96 offset1:144
	s_and_saveexec_b64 s[4:5], vcc
	s_cbranch_execz .LBB0_13
; %bb.12:
	v_mul_lo_u16_sdwa v3, v14, v22 dst_sel:DWORD dst_unused:UNUSED_PAD src0_sel:BYTE_1 src1_sel:DWORD
	v_or_b32_e32 v3, v3, v21
	v_mov_b32_e32 v4, 5
	v_lshlrev_b32_sdwa v3, v4, v3 dst_sel:DWORD dst_unused:UNUSED_PAD src0_sel:DWORD src1_sel:BYTE_0
	s_mov_b32 s6, 0x5040100
	v_add3_u32 v3, 0, v3, v8
	v_perm_b32 v4, v17, v16, s6
	v_perm_b32 v5, v20, v1, s6
	ds_write2_b32 v3, v4, v5 offset1:48
	v_perm_b32 v4, v19, v2, s6
	v_perm_b32 v5, v18, v15, s6
	ds_write2_b32 v3, v4, v5 offset0:96 offset1:144
.LBB0_13:
	s_or_b64 exec, exec, s[4:5]
	s_waitcnt lgkmcnt(0)
	s_barrier
	ds_read2st64_b32 v[3:4], v11 offset1:6
	ds_read2st64_b32 v[5:6], v11 offset0:12 offset1:18
	v_and_b32_e32 v13, 0xf8, v0
	v_lshl_add_u32 v13, v13, 2, 0
	s_and_saveexec_b64 s[4:5], vcc
	s_cbranch_execz .LBB0_15
; %bb.14:
	v_add3_u32 v1, 0, v12, v8
	v_add_u32_e32 v15, v13, v8
	ds_read_b32 v16, v1
	ds_read2st64_b32 v[1:2], v15 offset0:10 offset1:16
	ds_read_b32 v15, v15 offset:5632
	s_waitcnt lgkmcnt(2)
	v_lshrrev_b32_e32 v17, 16, v16
	s_waitcnt lgkmcnt(1)
	v_lshrrev_b32_e32 v20, 16, v1
	v_lshrrev_b32_e32 v19, 16, v2
	s_waitcnt lgkmcnt(0)
	v_lshrrev_b32_e32 v18, 16, v15
.LBB0_15:
	s_or_b64 exec, exec, s[4:5]
	v_mul_lo_u16_e32 v25, 11, v10
	v_mov_b32_e32 v21, 24
	v_mul_lo_u16_sdwa v21, v25, v21 dst_sel:DWORD dst_unused:UNUSED_PAD src0_sel:BYTE_1 src1_sel:DWORD
	v_sub_u16_e32 v26, v10, v21
	v_mov_b32_e32 v21, 3
	v_mul_u32_u24_sdwa v22, v26, v21 dst_sel:DWORD dst_unused:UNUSED_PAD src0_sel:BYTE_0 src1_sel:DWORD
	v_lshlrev_b32_e32 v22, 2, v22
	global_load_dwordx3 v[22:24], v22, s[8:9] offset:72
	s_movk_i32 s4, 0x60
	s_waitcnt lgkmcnt(1)
	v_lshrrev_b32_e32 v28, 16, v4
	s_waitcnt lgkmcnt(0)
	v_lshrrev_b32_e32 v29, 16, v5
	v_lshrrev_b32_e32 v30, 16, v6
	v_mul_u32_u24_sdwa v25, v25, s4 dst_sel:DWORD dst_unused:UNUSED_PAD src0_sel:BYTE_1 src1_sel:DWORD
	v_or_b32_sdwa v25, v25, v26 dst_sel:DWORD dst_unused:UNUSED_PAD src0_sel:DWORD src1_sel:BYTE_0
	v_lshrrev_b32_e32 v27, 16, v3
	v_lshlrev_b32_e32 v25, 5, v25
	v_add3_u32 v25, 0, v25, v8
	s_waitcnt vmcnt(0)
	s_barrier
	v_mul_f16_sdwa v26, v22, v28 dst_sel:DWORD dst_unused:UNUSED_PAD src0_sel:WORD_1 src1_sel:DWORD
	v_mul_f16_sdwa v31, v22, v4 dst_sel:DWORD dst_unused:UNUSED_PAD src0_sel:WORD_1 src1_sel:DWORD
	;; [unrolled: 1-line block ×6, first 2 shown]
	v_fma_f16 v4, v22, v4, -v26
	v_fma_f16 v22, v22, v28, v31
	v_fma_f16 v5, v23, v5, -v32
	v_fma_f16 v23, v23, v29, v33
	;; [unrolled: 2-line block ×3, first 2 shown]
	v_sub_f16_e32 v5, v3, v5
	v_sub_f16_e32 v23, v27, v23
	;; [unrolled: 1-line block ×4, first 2 shown]
	v_fma_f16 v3, v3, 2.0, -v5
	v_fma_f16 v26, v27, 2.0, -v23
	;; [unrolled: 1-line block ×4, first 2 shown]
	v_sub_f16_e32 v24, v5, v24
	v_add_f16_e32 v6, v23, v6
	v_sub_f16_e32 v4, v3, v4
	v_sub_f16_e32 v22, v26, v22
	v_fma_f16 v5, v5, 2.0, -v24
	v_fma_f16 v23, v23, 2.0, -v6
	v_pack_b32_f16 v6, v24, v6
	v_fma_f16 v3, v3, 2.0, -v4
	v_fma_f16 v24, v26, 2.0, -v22
	v_pack_b32_f16 v5, v5, v23
	v_pack_b32_f16 v3, v3, v24
	;; [unrolled: 1-line block ×3, first 2 shown]
	ds_write2st64_b32 v25, v3, v5 offset1:3
	ds_write2st64_b32 v25, v4, v6 offset0:6 offset1:9
	s_and_saveexec_b64 s[4:5], vcc
	s_cbranch_execz .LBB0_17
; %bb.16:
	v_lshrrev_b16_e32 v3, 10, v14
	v_mul_lo_u16_e32 v3, 24, v3
	v_sub_u16_e32 v6, v9, v3
	v_mul_u32_u24_sdwa v3, v6, v21 dst_sel:DWORD dst_unused:UNUSED_PAD src0_sel:BYTE_0 src1_sel:DWORD
	v_lshlrev_b32_e32 v3, 2, v3
	global_load_dwordx3 v[3:5], v3, s[8:9] offset:72
	v_mov_b32_e32 v14, 5
	v_lshlrev_b32_sdwa v6, v14, v6 dst_sel:DWORD dst_unused:UNUSED_PAD src0_sel:DWORD src1_sel:BYTE_0
	v_add3_u32 v6, 0, v6, v8
	s_waitcnt vmcnt(0)
	v_mul_f16_sdwa v14, v19, v4 dst_sel:DWORD dst_unused:UNUSED_PAD src0_sel:DWORD src1_sel:WORD_1
	v_mul_f16_sdwa v21, v1, v3 dst_sel:DWORD dst_unused:UNUSED_PAD src0_sel:DWORD src1_sel:WORD_1
	;; [unrolled: 1-line block ×6, first 2 shown]
	v_fma_f16 v2, v2, v4, -v14
	v_fma_f16 v14, v20, v3, v21
	v_fma_f16 v18, v18, v5, v22
	;; [unrolled: 1-line block ×3, first 2 shown]
	v_fma_f16 v1, v1, v3, -v24
	v_fma_f16 v3, v15, v5, -v25
	v_sub_f16_e32 v2, v16, v2
	v_sub_f16_e32 v5, v14, v18
	;; [unrolled: 1-line block ×5, first 2 shown]
	v_add_f16_e32 v18, v4, v3
	v_fma_f16 v16, v16, 2.0, -v2
	v_fma_f16 v1, v1, 2.0, -v3
	;; [unrolled: 1-line block ×4, first 2 shown]
	v_sub_f16_e32 v1, v16, v1
	v_sub_f16_e32 v5, v3, v5
	v_fma_f16 v2, v2, 2.0, -v15
	v_fma_f16 v4, v4, 2.0, -v18
	v_pack_b32_f16 v14, v15, v18
	v_fma_f16 v15, v16, 2.0, -v1
	v_fma_f16 v3, v3, 2.0, -v5
	v_pack_b32_f16 v2, v2, v4
	v_pack_b32_f16 v3, v15, v3
	;; [unrolled: 1-line block ×3, first 2 shown]
	ds_write2st64_b32 v6, v3, v2 offset0:12 offset1:15
	ds_write2st64_b32 v6, v1, v14 offset0:18 offset1:21
.LBB0_17:
	s_or_b64 exec, exec, s[4:5]
	s_movk_i32 s4, 0x300
	v_or_b32_e32 v1, 0xffffffa0, v10
	v_cmp_gt_u32_e32 vcc, s4, v0
	v_cndmask_b32_e32 v1, v1, v10, vcc
	v_mov_b32_e32 v2, 0
	v_lshlrev_b64 v[3:4], 2, v[1:2]
	v_mov_b32_e32 v6, s9
	v_add_co_u32_e32 v3, vcc, s8, v3
	v_addc_co_u32_e32 v4, vcc, v6, v4, vcc
	s_waitcnt lgkmcnt(0)
	s_barrier
	global_load_dword v18, v[3:4], off offset:360
	s_mul_i32 s1, s1, s7
	s_mul_hi_u32 s4, s0, s7
	s_add_i32 s1, s4, s1
	s_movk_i32 s4, 0x200
	v_or_b32_e32 v3, 0xffffffc0, v10
	v_cmp_gt_u32_e32 vcc, s4, v0
	v_cndmask_b32_e32 v3, v3, v9, vcc
	v_mov_b32_e32 v4, v2
	v_lshlrev_b64 v[4:5], 2, v[3:4]
	s_movk_i32 s4, 0x100
	v_add_co_u32_e32 v4, vcc, s8, v4
	v_addc_co_u32_e32 v5, vcc, v6, v5, vcc
	global_load_dword v19, v[4:5], off offset:360
	v_or_b32_e32 v21, 64, v10
	v_or_b32_e32 v10, 0xffffffe0, v10
	v_cmp_gt_u32_e32 vcc, s4, v0
	ds_read2st64_b32 v[4:5], v11 offset1:12
	v_add_u32_e32 v11, v13, v8
	v_cndmask_b32_e32 v13, v10, v21, vcc
	v_mov_b32_e32 v14, v2
	v_lshlrev_b64 v[14:15], 2, v[13:14]
	v_mad_u64_u32 v[16:17], s[4:5], s16, v7, 0
	v_add_co_u32_e32 v14, vcc, s8, v14
	v_addc_co_u32_e32 v15, vcc, v6, v15, vcc
	global_load_dword v10, v[14:15], off offset:360
	v_mov_b32_e32 v6, v17
	v_mad_u64_u32 v[6:7], s[4:5], s17, v7, v[6:7]
	s_movk_i32 s4, 0x2ff
	v_cmp_lt_u32_e32 vcc, s4, v0
	v_mov_b32_e32 v17, v6
	v_mov_b32_e32 v6, 0xc0
	v_cndmask_b32_e32 v0, 0, v6, vcc
	s_lshl_b64 s[2:3], s[2:3], 2
	s_mul_i32 s0, s0, s7
	v_lshlrev_b32_e32 v22, 5, v21
	v_add_u32_e32 v0, v1, v0
	s_add_u32 s2, s22, s2
	v_add3_u32 v20, 0, v12, v8
	v_add3_u32 v7, 0, v22, v8
	v_mul_lo_u32 v1, v0, s18
	s_addc_u32 s3, s23, s3
	s_lshl_b64 s[0:1], s[0:1], 2
	ds_read2st64_b32 v[11:12], v11 offset0:16 offset1:20
	ds_read_b32 v8, v20
	ds_read_b32 v20, v7
	v_lshlrev_b64 v[6:7], 2, v[16:17]
	s_add_u32 s0, s0, s2
	s_addc_u32 s1, s1, s3
	v_mov_b32_e32 v0, s1
	v_add_co_u32_e32 v16, vcc, s0, v6
	v_addc_co_u32_e32 v17, vcc, v0, v7, vcc
	v_lshlrev_b64 v[6:7], 2, v[1:2]
	s_mul_i32 s0, s18, 0x60
	v_add_u32_e32 v1, s0, v1
	v_add_co_u32_e32 v6, vcc, v16, v6
	v_lshlrev_b64 v[0:1], 2, v[1:2]
	v_addc_co_u32_e32 v7, vcc, v17, v7, vcc
	v_add_co_u32_e32 v14, vcc, v16, v0
	v_addc_co_u32_e32 v15, vcc, v17, v1, vcc
	s_mov_b32 s1, 0xffff
	s_waitcnt vmcnt(2) lgkmcnt(3)
	v_pk_mul_f16 v0, v18, v5 op_sel:[0,1]
	v_pk_fma_f16 v1, v18, v5, v0 op_sel:[0,0,1] op_sel_hi:[1,1,0] neg_lo:[0,0,1] neg_hi:[0,0,1]
	v_pk_fma_f16 v0, v18, v5, v0 op_sel:[0,0,1] op_sel_hi:[1,0,0]
	v_bfi_b32 v0, s1, v1, v0
	v_sub_u32_e32 v1, v9, v3
	v_add_u32_e32 v1, v1, v9
	v_mul_lo_u32 v1, v1, s18
	v_pk_add_f16 v0, v4, v0 neg_lo:[0,1] neg_hi:[0,1]
	v_pk_fma_f16 v3, v4, 2.0, v0 op_sel_hi:[1,0,1] neg_lo:[0,0,1] neg_hi:[0,0,1]
	global_store_dword v[6:7], v3, off
	global_store_dword v[14:15], v0, off
	v_lshlrev_b64 v[3:4], 2, v[1:2]
	v_add_u32_e32 v1, s0, v1
	v_add_co_u32_e32 v3, vcc, v16, v3
	v_lshlrev_b64 v[0:1], 2, v[1:2]
	v_addc_co_u32_e32 v4, vcc, v17, v4, vcc
	v_add_co_u32_e32 v5, vcc, v16, v0
	s_waitcnt vmcnt(3) lgkmcnt(2)
	v_pk_mul_f16 v0, v19, v11 op_sel:[0,1]
	v_addc_co_u32_e32 v6, vcc, v17, v1, vcc
	v_pk_fma_f16 v1, v19, v11, v0 op_sel:[0,0,1] op_sel_hi:[1,1,0] neg_lo:[0,0,1] neg_hi:[0,0,1]
	v_pk_fma_f16 v0, v19, v11, v0 op_sel:[0,0,1] op_sel_hi:[1,0,0]
	v_bfi_b32 v0, s1, v1, v0
	v_sub_u32_e32 v1, v21, v13
	v_add_u32_e32 v1, v1, v21
	v_mul_lo_u32 v1, v1, s18
	s_waitcnt lgkmcnt(1)
	v_pk_add_f16 v0, v8, v0 neg_lo:[0,1] neg_hi:[0,1]
	v_pk_fma_f16 v7, v8, 2.0, v0 op_sel_hi:[1,0,1] neg_lo:[0,0,1] neg_hi:[0,0,1]
	global_store_dword v[3:4], v7, off
	global_store_dword v[5:6], v0, off
	v_lshlrev_b64 v[3:4], 2, v[1:2]
	v_add_u32_e32 v1, s0, v1
	v_lshlrev_b64 v[0:1], 2, v[1:2]
	s_waitcnt vmcnt(4)
	v_pk_mul_f16 v2, v10, v12 op_sel:[0,1]
	v_pk_fma_f16 v5, v10, v12, v2 op_sel:[0,0,1] op_sel_hi:[1,1,0] neg_lo:[0,0,1] neg_hi:[0,0,1]
	v_pk_fma_f16 v2, v10, v12, v2 op_sel:[0,0,1] op_sel_hi:[1,0,0]
	v_add_co_u32_e32 v3, vcc, v16, v3
	v_bfi_b32 v2, s1, v5, v2
	v_addc_co_u32_e32 v4, vcc, v17, v4, vcc
	s_waitcnt lgkmcnt(0)
	v_pk_add_f16 v2, v20, v2 neg_lo:[0,1] neg_hi:[0,1]
	v_add_co_u32_e32 v0, vcc, v16, v0
	v_pk_fma_f16 v5, v20, 2.0, v2 op_sel_hi:[1,0,1] neg_lo:[0,0,1] neg_hi:[0,0,1]
	v_addc_co_u32_e32 v1, vcc, v17, v1, vcc
	global_store_dword v[3:4], v5, off
	global_store_dword v[0:1], v2, off
	s_endpgm
	.section	.rodata,"a",@progbits
	.p2align	6, 0x0
	.amdhsa_kernel fft_rtc_fwd_len192_factors_6_4_4_2_wgs_256_tpt_32_half_op_CI_CI_sbrc_aligned_dirReg
		.amdhsa_group_segment_fixed_size 0
		.amdhsa_private_segment_fixed_size 0
		.amdhsa_kernarg_size 104
		.amdhsa_user_sgpr_count 6
		.amdhsa_user_sgpr_private_segment_buffer 1
		.amdhsa_user_sgpr_dispatch_ptr 0
		.amdhsa_user_sgpr_queue_ptr 0
		.amdhsa_user_sgpr_kernarg_segment_ptr 1
		.amdhsa_user_sgpr_dispatch_id 0
		.amdhsa_user_sgpr_flat_scratch_init 0
		.amdhsa_user_sgpr_private_segment_size 0
		.amdhsa_uses_dynamic_stack 0
		.amdhsa_system_sgpr_private_segment_wavefront_offset 0
		.amdhsa_system_sgpr_workgroup_id_x 1
		.amdhsa_system_sgpr_workgroup_id_y 0
		.amdhsa_system_sgpr_workgroup_id_z 0
		.amdhsa_system_sgpr_workgroup_info 0
		.amdhsa_system_vgpr_workitem_id 0
		.amdhsa_next_free_vgpr 40
		.amdhsa_next_free_sgpr 43
		.amdhsa_reserve_vcc 1
		.amdhsa_reserve_flat_scratch 0
		.amdhsa_float_round_mode_32 0
		.amdhsa_float_round_mode_16_64 0
		.amdhsa_float_denorm_mode_32 3
		.amdhsa_float_denorm_mode_16_64 3
		.amdhsa_dx10_clamp 1
		.amdhsa_ieee_mode 1
		.amdhsa_fp16_overflow 0
		.amdhsa_exception_fp_ieee_invalid_op 0
		.amdhsa_exception_fp_denorm_src 0
		.amdhsa_exception_fp_ieee_div_zero 0
		.amdhsa_exception_fp_ieee_overflow 0
		.amdhsa_exception_fp_ieee_underflow 0
		.amdhsa_exception_fp_ieee_inexact 0
		.amdhsa_exception_int_div_zero 0
	.end_amdhsa_kernel
	.text
.Lfunc_end0:
	.size	fft_rtc_fwd_len192_factors_6_4_4_2_wgs_256_tpt_32_half_op_CI_CI_sbrc_aligned_dirReg, .Lfunc_end0-fft_rtc_fwd_len192_factors_6_4_4_2_wgs_256_tpt_32_half_op_CI_CI_sbrc_aligned_dirReg
                                        ; -- End function
	.section	.AMDGPU.csdata,"",@progbits
; Kernel info:
; codeLenInByte = 4624
; NumSgprs: 47
; NumVgprs: 40
; ScratchSize: 0
; MemoryBound: 0
; FloatMode: 240
; IeeeMode: 1
; LDSByteSize: 0 bytes/workgroup (compile time only)
; SGPRBlocks: 5
; VGPRBlocks: 9
; NumSGPRsForWavesPerEU: 47
; NumVGPRsForWavesPerEU: 40
; Occupancy: 6
; WaveLimiterHint : 1
; COMPUTE_PGM_RSRC2:SCRATCH_EN: 0
; COMPUTE_PGM_RSRC2:USER_SGPR: 6
; COMPUTE_PGM_RSRC2:TRAP_HANDLER: 0
; COMPUTE_PGM_RSRC2:TGID_X_EN: 1
; COMPUTE_PGM_RSRC2:TGID_Y_EN: 0
; COMPUTE_PGM_RSRC2:TGID_Z_EN: 0
; COMPUTE_PGM_RSRC2:TIDIG_COMP_CNT: 0
	.type	__hip_cuid_87e42a2fc2807fad,@object ; @__hip_cuid_87e42a2fc2807fad
	.section	.bss,"aw",@nobits
	.globl	__hip_cuid_87e42a2fc2807fad
__hip_cuid_87e42a2fc2807fad:
	.byte	0                               ; 0x0
	.size	__hip_cuid_87e42a2fc2807fad, 1

	.ident	"AMD clang version 19.0.0git (https://github.com/RadeonOpenCompute/llvm-project roc-6.4.0 25133 c7fe45cf4b819c5991fe208aaa96edf142730f1d)"
	.section	".note.GNU-stack","",@progbits
	.addrsig
	.addrsig_sym __hip_cuid_87e42a2fc2807fad
	.amdgpu_metadata
---
amdhsa.kernels:
  - .args:
      - .actual_access:  read_only
        .address_space:  global
        .offset:         0
        .size:           8
        .value_kind:     global_buffer
      - .offset:         8
        .size:           8
        .value_kind:     by_value
      - .actual_access:  read_only
        .address_space:  global
        .offset:         16
        .size:           8
        .value_kind:     global_buffer
      - .actual_access:  read_only
        .address_space:  global
        .offset:         24
        .size:           8
        .value_kind:     global_buffer
      - .actual_access:  read_only
        .address_space:  global
        .offset:         32
        .size:           8
        .value_kind:     global_buffer
      - .offset:         40
        .size:           8
        .value_kind:     by_value
      - .actual_access:  read_only
        .address_space:  global
        .offset:         48
        .size:           8
        .value_kind:     global_buffer
      - .actual_access:  read_only
        .address_space:  global
        .offset:         56
        .size:           8
        .value_kind:     global_buffer
      - .offset:         64
        .size:           4
        .value_kind:     by_value
      - .actual_access:  read_only
        .address_space:  global
        .offset:         72
        .size:           8
        .value_kind:     global_buffer
      - .actual_access:  read_only
        .address_space:  global
        .offset:         80
        .size:           8
        .value_kind:     global_buffer
      - .actual_access:  read_only
        .address_space:  global
        .offset:         88
        .size:           8
        .value_kind:     global_buffer
      - .actual_access:  write_only
        .address_space:  global
        .offset:         96
        .size:           8
        .value_kind:     global_buffer
    .group_segment_fixed_size: 0
    .kernarg_segment_align: 8
    .kernarg_segment_size: 104
    .language:       OpenCL C
    .language_version:
      - 2
      - 0
    .max_flat_workgroup_size: 256
    .name:           fft_rtc_fwd_len192_factors_6_4_4_2_wgs_256_tpt_32_half_op_CI_CI_sbrc_aligned_dirReg
    .private_segment_fixed_size: 0
    .sgpr_count:     47
    .sgpr_spill_count: 0
    .symbol:         fft_rtc_fwd_len192_factors_6_4_4_2_wgs_256_tpt_32_half_op_CI_CI_sbrc_aligned_dirReg.kd
    .uniform_work_group_size: 1
    .uses_dynamic_stack: false
    .vgpr_count:     40
    .vgpr_spill_count: 0
    .wavefront_size: 64
amdhsa.target:   amdgcn-amd-amdhsa--gfx906
amdhsa.version:
  - 1
  - 2
...

	.end_amdgpu_metadata
